;; amdgpu-corpus repo=ROCm/rocFFT kind=compiled arch=gfx1030 opt=O3
	.text
	.amdgcn_target "amdgcn-amd-amdhsa--gfx1030"
	.amdhsa_code_object_version 6
	.protected	bluestein_single_back_len75_dim1_half_op_CI_CI ; -- Begin function bluestein_single_back_len75_dim1_half_op_CI_CI
	.globl	bluestein_single_back_len75_dim1_half_op_CI_CI
	.p2align	8
	.type	bluestein_single_back_len75_dim1_half_op_CI_CI,@function
bluestein_single_back_len75_dim1_half_op_CI_CI: ; @bluestein_single_back_len75_dim1_half_op_CI_CI
; %bb.0:
	s_load_dwordx4 s[0:3], s[4:5], 0x28
	v_mul_u32_u24_e32 v1, 0xa3e, v0
	v_lshrrev_b32_e32 v1, 16, v1
	v_mad_u64_u32 v[4:5], null, s6, 10, v[1:2]
	v_mov_b32_e32 v5, 0
	s_waitcnt lgkmcnt(0)
	v_cmp_gt_u64_e32 vcc_lo, s[0:1], v[4:5]
	s_and_saveexec_b32 s0, vcc_lo
	s_cbranch_execz .LBB0_23
; %bb.1:
	v_mul_hi_u32 v2, 0xcccccccd, v4
	v_mul_lo_u16 v1, v1, 25
	s_clause 0x1
	s_load_dwordx2 s[12:13], s[4:5], 0x0
	s_load_dwordx2 s[6:7], s[4:5], 0x38
	v_sub_nc_u16 v0, v0, v1
	v_lshrrev_b32_e32 v2, 3, v2
	v_and_b32_e32 v14, 0xffff, v0
	v_cmp_gt_u16_e32 vcc_lo, 15, v0
	v_mul_lo_u32 v2, v2, 10
	v_lshlrev_b32_e32 v16, 2, v14
	v_sub_nc_u32_e32 v1, v4, v2
	v_mul_u32_u24_e32 v15, 0x4b, v1
	v_lshlrev_b32_e32 v17, 2, v15
	s_and_saveexec_b32 s1, vcc_lo
	s_cbranch_execz .LBB0_3
; %bb.2:
	s_load_dwordx2 s[8:9], s[4:5], 0x18
	v_lshl_add_u32 v20, v14, 2, v17
	s_waitcnt lgkmcnt(0)
	s_load_dwordx4 s[8:11], s[8:9], 0x0
	s_waitcnt lgkmcnt(0)
	v_mad_u64_u32 v[0:1], null, s10, v4, 0
	v_mad_u64_u32 v[2:3], null, s8, v14, 0
	s_mul_hi_u32 s10, s8, 60
	v_mad_u64_u32 v[5:6], null, s11, v4, v[1:2]
	v_mad_u64_u32 v[6:7], null, s9, v14, v[3:4]
	s_mul_i32 s9, s9, 60
	s_add_i32 s10, s10, s9
	v_mov_b32_e32 v1, v5
	v_mov_b32_e32 v3, v6
	s_clause 0x1
	global_load_dword v5, v16, s[12:13]
	global_load_dword v6, v16, s[12:13] offset:60
	v_lshlrev_b64 v[0:1], 2, v[0:1]
	v_lshlrev_b64 v[2:3], 2, v[2:3]
	v_add_co_u32 v0, s0, s2, v0
	v_add_co_ci_u32_e64 v1, s0, s3, v1, s0
	s_mul_i32 s2, s8, 60
	v_add_co_u32 v0, s0, v0, v2
	v_add_co_ci_u32_e64 v1, s0, v1, v3, s0
	v_add_co_u32 v2, s0, v0, s2
	v_add_co_ci_u32_e64 v3, s0, s10, v1, s0
	s_clause 0x1
	global_load_dword v7, v[0:1], off
	global_load_dword v8, v[2:3], off
	v_add_co_u32 v0, s0, v2, s2
	v_add_co_ci_u32_e64 v1, s0, s10, v3, s0
	v_add_co_u32 v2, s0, v0, s2
	v_add_co_ci_u32_e64 v3, s0, s10, v1, s0
	global_load_dword v9, v[0:1], off
	v_add_co_u32 v0, s0, v2, s2
	v_add_co_ci_u32_e64 v1, s0, s10, v3, s0
	global_load_dword v10, v16, s[12:13] offset:120
	s_clause 0x1
	global_load_dword v2, v[2:3], off
	global_load_dword v0, v[0:1], off
	s_clause 0x1
	global_load_dword v1, v16, s[12:13] offset:180
	global_load_dword v3, v16, s[12:13] offset:240
	s_waitcnt vmcnt(7)
	v_lshrrev_b32_e32 v11, 16, v7
	v_mul_f16_sdwa v12, v5, v7 dst_sel:DWORD dst_unused:UNUSED_PAD src0_sel:WORD_1 src1_sel:DWORD
	s_waitcnt vmcnt(6)
	v_lshrrev_b32_e32 v18, 16, v8
	v_mul_f16_sdwa v19, v6, v8 dst_sel:DWORD dst_unused:UNUSED_PAD src0_sel:WORD_1 src1_sel:DWORD
	v_mul_f16_sdwa v13, v5, v11 dst_sel:DWORD dst_unused:UNUSED_PAD src0_sel:WORD_1 src1_sel:DWORD
	v_fma_f16 v11, v5, v11, -v12
	v_fmac_f16_e32 v13, v5, v7
	v_mul_f16_sdwa v5, v6, v18 dst_sel:DWORD dst_unused:UNUSED_PAD src0_sel:WORD_1 src1_sel:DWORD
	v_fma_f16 v7, v6, v18, -v19
	s_waitcnt vmcnt(5)
	v_lshrrev_b32_e32 v12, 16, v9
	s_waitcnt vmcnt(4)
	v_mul_f16_sdwa v18, v10, v9 dst_sel:DWORD dst_unused:UNUSED_PAD src0_sel:WORD_1 src1_sel:DWORD
	v_fmac_f16_e32 v5, v6, v8
	s_waitcnt vmcnt(3)
	v_lshrrev_b32_e32 v6, 16, v2
	s_waitcnt vmcnt(2)
	v_lshrrev_b32_e32 v8, 16, v0
	v_pack_b32_f16 v11, v13, v11
	v_mul_f16_sdwa v13, v10, v12 dst_sel:DWORD dst_unused:UNUSED_PAD src0_sel:WORD_1 src1_sel:DWORD
	v_fma_f16 v12, v10, v12, -v18
	s_waitcnt vmcnt(1)
	v_mul_f16_sdwa v18, v1, v2 dst_sel:DWORD dst_unused:UNUSED_PAD src0_sel:WORD_1 src1_sel:DWORD
	v_mul_f16_sdwa v19, v1, v6 dst_sel:DWORD dst_unused:UNUSED_PAD src0_sel:WORD_1 src1_sel:DWORD
	s_waitcnt vmcnt(0)
	v_mul_f16_sdwa v21, v3, v8 dst_sel:DWORD dst_unused:UNUSED_PAD src0_sel:WORD_1 src1_sel:DWORD
	v_mul_f16_sdwa v22, v3, v0 dst_sel:DWORD dst_unused:UNUSED_PAD src0_sel:WORD_1 src1_sel:DWORD
	v_fmac_f16_e32 v13, v10, v9
	v_fma_f16 v6, v1, v6, -v18
	v_fmac_f16_e32 v19, v1, v2
	v_fmac_f16_e32 v21, v3, v0
	v_fma_f16 v0, v3, v8, -v22
	v_add_nc_u32_e32 v1, v17, v16
	v_pack_b32_f16 v2, v5, v7
	v_pack_b32_f16 v3, v13, v12
	;; [unrolled: 1-line block ×4, first 2 shown]
	ds_write_b32 v20, v11
	ds_write2_b32 v1, v2, v3 offset0:15 offset1:30
	ds_write2_b32 v1, v5, v0 offset0:45 offset1:60
.LBB0_3:
	s_or_b32 exec_lo, exec_lo, s1
	s_waitcnt lgkmcnt(0)
	s_barrier
	buffer_gl0_inv
                                        ; implicit-def: $vgpr0
                                        ; implicit-def: $vgpr2
                                        ; implicit-def: $vgpr5
	s_and_saveexec_b32 s0, vcc_lo
	s_cbranch_execz .LBB0_5
; %bb.4:
	v_lshl_add_u32 v5, v15, 2, v16
	ds_read2_b32 v[0:1], v5 offset1:15
	ds_read2_b32 v[2:3], v5 offset0:30 offset1:45
	ds_read_b32 v5, v5 offset:240
.LBB0_5:
	s_or_b32 exec_lo, exec_lo, s0
	s_waitcnt lgkmcnt(0)
	v_pk_add_f16 v6, v1, v5
	v_pk_add_f16 v9, v2, v3
	v_pk_add_f16 v10, v1, v5 neg_lo:[0,1] neg_hi:[0,1]
	v_pk_add_f16 v7, v0, v1
	v_pk_add_f16 v8, v2, v3 neg_lo:[0,1] neg_hi:[0,1]
	v_pk_fma_f16 v6, v6, 0.5, v0 op_sel_hi:[1,0,1] neg_lo:[1,0,0] neg_hi:[1,0,0]
	v_pk_add_f16 v11, v2, v1 neg_lo:[0,1] neg_hi:[0,1]
	v_pk_add_f16 v12, v3, v5 neg_lo:[0,1] neg_hi:[0,1]
	v_pk_fma_f16 v0, v9, 0.5, v0 op_sel_hi:[1,0,1] neg_lo:[1,0,0] neg_hi:[1,0,0]
	v_pk_mul_f16 v13, 0x3b9c, v10 op_sel_hi:[0,1]
	s_load_dwordx2 s[8:9], s[4:5], 0x8
	v_pk_fma_f16 v9, 0x3b9c, v8, v6 op_sel:[0,0,1] op_sel_hi:[0,1,0] neg_lo:[0,1,0] neg_hi:[0,1,0]
	v_pk_add_f16 v11, v11, v12
	v_pk_mul_f16 v12, 0x38b4, v8 op_sel_hi:[0,1]
	v_pk_add_f16 v18, v0, v13 op_sel:[0,1] op_sel_hi:[1,0] neg_lo:[0,1] neg_hi:[0,1]
	v_pk_add_f16 v0, v0, v13 op_sel:[0,1] op_sel_hi:[1,0]
	v_pk_add_f16 v7, v7, v2
	v_pk_fma_f16 v9, 0x38b4, v10, v9 op_sel_hi:[0,1,1]
	v_pk_mul_f16 v11, 0x34f2, v11 op_sel_hi:[0,1]
	v_pk_add_f16 v1, v1, v2 neg_lo:[0,1] neg_hi:[0,1]
	v_pk_add_f16 v2, v5, v3 neg_lo:[0,1] neg_hi:[0,1]
	v_pk_add_f16 v13, v18, v12 op_sel:[0,1] op_sel_hi:[1,0] neg_lo:[0,1] neg_hi:[0,1]
	v_pk_add_f16 v0, v0, v12 op_sel:[0,1] op_sel_hi:[1,0]
	v_pk_fma_f16 v6, 0x3b9c, v8, v6 op_sel:[0,0,1] op_sel_hi:[0,1,0]
	v_pk_add_f16 v3, v7, v3
	v_pk_add_f16 v9, v11, v9 op_sel:[1,0] op_sel_hi:[0,1]
	v_pk_add_f16 v1, v1, v2
	v_bfi_b32 v2, 0xffff, v0, v13
	v_bfi_b32 v0, 0xffff, v13, v0
	v_pk_fma_f16 v8, 0x38b4, v10, v6 op_sel_hi:[0,1,1] neg_lo:[0,1,0] neg_hi:[0,1,0]
	v_pk_add_f16 v5, v3, v5
	v_lshrrev_b32_e32 v7, 16, v9
	v_pk_fma_f16 v6, 0x34f2, v1, v2 op_sel_hi:[0,1,1]
	v_pk_fma_f16 v10, 0x34f2, v1, v0 op_sel_hi:[0,1,1]
	v_pk_add_f16 v8, v11, v8 op_sel:[1,0] op_sel_hi:[0,1]
	v_mul_lo_u16 v13, v14, 5
	s_waitcnt lgkmcnt(0)
	s_barrier
	buffer_gl0_inv
	s_and_saveexec_b32 s0, vcc_lo
	s_cbranch_execz .LBB0_7
; %bb.6:
	v_and_b32_e32 v0, 0xffff, v13
	v_perm_b32 v1, v8, v7, 0x5040100
	v_alignbit_b32 v2, v9, v8, 16
	v_add_lshl_u32 v0, v15, v0, 2
	ds_write2_b32 v0, v5, v6 offset1:1
	ds_write2_b32 v0, v1, v2 offset0:2 offset1:3
	ds_write_b32 v0, v10 offset:16
.LBB0_7:
	s_or_b32 exec_lo, exec_lo, s0
	s_load_dwordx2 s[0:1], s[4:5], 0x20
	v_lshrrev_b32_e32 v20, 16, v6
	v_add_lshl_u32 v19, v15, v14, 2
	s_waitcnt lgkmcnt(0)
	s_barrier
	buffer_gl0_inv
	s_and_saveexec_b32 s2, vcc_lo
	s_cbranch_execz .LBB0_9
; %bb.8:
	ds_read2_b32 v[5:6], v19 offset1:15
	ds_read2_b32 v[7:8], v19 offset0:30 offset1:45
	ds_read_b32 v10, v19 offset:240
	s_waitcnt lgkmcnt(2)
	v_lshrrev_b32_e32 v20, 16, v6
	s_waitcnt lgkmcnt(1)
	v_lshrrev_b32_e32 v9, 16, v8
	v_alignbit_b32 v8, v8, v7, 16
.LBB0_9:
	s_or_b32 exec_lo, exec_lo, s2
	v_and_b32_e32 v0, 0xff, v14
	v_lshrrev_b32_e32 v21, 16, v8
	s_waitcnt lgkmcnt(0)
	v_lshrrev_b32_e32 v22, 16, v10
	v_lshrrev_b32_e32 v26, 16, v5
	v_mul_lo_u16 v0, 0xcd, v0
	v_lshrrev_b16 v38, 10, v0
	v_mul_lo_u16 v0, v38, 5
	v_sub_nc_u16 v39, v14, v0
	v_lshlrev_b16 v0, 2, v39
	v_and_b32_e32 v0, 0xfc, v0
	v_lshlrev_b32_e32 v0, 2, v0
	global_load_dwordx4 v[0:3], v0, s[8:9]
	s_waitcnt vmcnt(0)
	s_barrier
	buffer_gl0_inv
	v_mul_f16_sdwa v24, v20, v0 dst_sel:DWORD dst_unused:UNUSED_PAD src0_sel:DWORD src1_sel:WORD_1
	v_mul_f16_sdwa v27, v6, v0 dst_sel:DWORD dst_unused:UNUSED_PAD src0_sel:DWORD src1_sel:WORD_1
	;; [unrolled: 1-line block ×8, first 2 shown]
	v_fmac_f16_e32 v27, v20, v0
	v_fma_f16 v23, v7, v1, -v23
	v_fmac_f16_e32 v18, v8, v1
	v_fma_f16 v7, v21, v2, -v25
	v_fmac_f16_e32 v11, v22, v3
	v_fmac_f16_e32 v12, v9, v2
	v_fma_f16 v8, v6, v0, -v24
	v_fma_f16 v6, v10, v3, -v28
	v_add_f16_e32 v9, v23, v7
	v_add_f16_e32 v35, v27, v11
	;; [unrolled: 1-line block ×3, first 2 shown]
	v_sub_f16_e32 v10, v8, v23
	v_sub_f16_e32 v20, v6, v7
	v_add_f16_e32 v21, v8, v6
	v_sub_f16_e32 v28, v27, v11
	v_sub_f16_e32 v29, v18, v12
	;; [unrolled: 1-line block ×6, first 2 shown]
	v_fma_f16 v9, -0.5, v9, v5
	v_add_f16_e32 v36, v10, v20
	v_fma_f16 v10, -0.5, v21, v5
	v_fma_f16 v33, -0.5, v25, v26
	v_fma_f16 v35, -0.5, v35, v26
	v_sub_f16_e32 v32, v27, v18
	v_sub_f16_e32 v37, v11, v12
	;; [unrolled: 1-line block ×4, first 2 shown]
	v_add_f16_e32 v34, v22, v24
	v_fmamk_f16 v25, v28, 0xbb9c, v9
	v_fmamk_f16 v24, v29, 0x3b9c, v10
	;; [unrolled: 1-line block ×4, first 2 shown]
	v_add_f16_e32 v32, v32, v37
	v_add_f16_e32 v37, v40, v41
	v_fmac_f16_e32 v25, 0xb8b4, v29
	v_fmac_f16_e32 v24, 0xb8b4, v28
	;; [unrolled: 1-line block ×4, first 2 shown]
	v_mad_u16 v20, v38, 25, v39
	v_fmac_f16_e32 v25, 0x34f2, v36
	v_fmac_f16_e32 v24, 0x34f2, v34
	;; [unrolled: 1-line block ×4, first 2 shown]
	s_and_saveexec_b32 s2, vcc_lo
	s_cbranch_execz .LBB0_11
; %bb.10:
	v_mul_f16_e32 v38, 0x3b9c, v28
	v_mul_f16_e32 v41, 0x38b4, v30
	;; [unrolled: 1-line block ×3, first 2 shown]
	v_add_f16_e32 v26, v26, v27
	v_add_f16_e32 v5, v5, v8
	v_mul_f16_e32 v39, 0x38b4, v29
	v_mul_f16_e32 v40, 0x3b9c, v31
	v_mul_f16_e32 v29, 0x3b9c, v29
	v_mul_f16_e32 v31, 0x38b4, v31
	v_sub_f16_e32 v27, v33, v30
	v_add_f16_e32 v18, v26, v18
	v_add_f16_e32 v5, v5, v23
	;; [unrolled: 1-line block ×3, first 2 shown]
	v_mul_f16_e32 v28, 0x38b4, v28
	v_add_f16_e32 v35, v40, v35
	v_sub_f16_e32 v10, v10, v29
	v_mul_f16_e32 v36, 0x34f2, v36
	v_mul_f16_e32 v8, 0x34f2, v32
	v_sub_f16_e32 v26, v27, v31
	v_add_f16_e32 v12, v18, v12
	v_add_f16_e32 v5, v5, v7
	;; [unrolled: 1-line block ×3, first 2 shown]
	v_mul_f16_e32 v34, 0x34f2, v34
	v_mul_f16_e32 v37, 0x34f2, v37
	v_sub_f16_e32 v35, v35, v41
	v_add_f16_e32 v9, v28, v10
	v_add_f16_e32 v8, v8, v26
	;; [unrolled: 1-line block ×3, first 2 shown]
	v_and_b32_e32 v11, 0xff, v20
	v_add_f16_e32 v5, v5, v6
	v_add_f16_e32 v6, v36, v7
	;; [unrolled: 1-line block ×4, first 2 shown]
	v_add_lshl_u32 v9, v15, v11, 2
	v_pack_b32_f16 v5, v5, v10
	v_pack_b32_f16 v6, v6, v8
	v_perm_b32 v8, v22, v24, 0x5040100
	v_pack_b32_f16 v7, v7, v30
	v_perm_b32 v10, v21, v25, 0x5040100
	ds_write2_b32 v9, v5, v6 offset1:5
	ds_write2_b32 v9, v7, v8 offset0:10 offset1:15
	ds_write_b32 v9, v10 offset:80
.LBB0_11:
	s_or_b32 exec_lo, exec_lo, s2
	v_lshlrev_b32_e32 v5, 3, v14
	s_load_dwordx4 s[0:3], s[0:1], 0x0
	s_waitcnt lgkmcnt(0)
	s_barrier
	buffer_gl0_inv
	global_load_dwordx2 v[5:6], v5, s[8:9] offset:80
	ds_read2_b32 v[11:12], v19 offset1:25
	ds_read_b32 v7, v19 offset:200
	s_waitcnt lgkmcnt(1)
	v_lshrrev_b32_e32 v8, 16, v12
	s_waitcnt lgkmcnt(0)
	v_lshrrev_b32_e32 v9, 16, v7
	v_lshrrev_b32_e32 v26, 16, v11
	s_waitcnt vmcnt(0)
	v_mul_f16_sdwa v10, v8, v5 dst_sel:DWORD dst_unused:UNUSED_PAD src0_sel:DWORD src1_sel:WORD_1
	v_mul_f16_sdwa v18, v9, v6 dst_sel:DWORD dst_unused:UNUSED_PAD src0_sel:DWORD src1_sel:WORD_1
	;; [unrolled: 1-line block ×4, first 2 shown]
	v_fma_f16 v10, v12, v5, -v10
	v_fma_f16 v7, v7, v6, -v18
	v_fmac_f16_e32 v23, v8, v5
	v_fmac_f16_e32 v27, v9, v6
	v_add_f16_e32 v9, v11, v10
	v_add_f16_e32 v8, v10, v7
	v_sub_f16_e32 v10, v10, v7
	v_add_f16_e32 v12, v23, v27
	v_sub_f16_e32 v18, v23, v27
	v_add_f16_e32 v23, v26, v23
	v_fmac_f16_e32 v11, -0.5, v8
	v_add_f16_e32 v7, v9, v7
	v_fmac_f16_e32 v26, -0.5, v12
	v_add_f16_e32 v23, v23, v27
	v_fmamk_f16 v8, v18, 0x3aee, v11
	v_fmac_f16_e32 v11, 0xbaee, v18
	v_fmamk_f16 v27, v10, 0xbaee, v26
	v_fmac_f16_e32 v26, 0x3aee, v10
	v_lshl_add_u32 v18, v14, 2, v17
	v_pack_b32_f16 v9, v7, v23
	v_pack_b32_f16 v10, v8, v27
	;; [unrolled: 1-line block ×3, first 2 shown]
	ds_write2_b32 v18, v9, v10 offset1:25
	ds_write_b32 v18, v12 offset:200
	s_waitcnt lgkmcnt(0)
	s_barrier
	buffer_gl0_inv
	s_and_saveexec_b32 s4, vcc_lo
	s_cbranch_execz .LBB0_13
; %bb.12:
	s_add_u32 s8, s12, 0x12c
	s_addc_u32 s9, s13, 0
	s_clause 0x4
	global_load_dword v12, v16, s[12:13] offset:300
	global_load_dword v30, v16, s[8:9] offset:60
	;; [unrolled: 1-line block ×5, first 2 shown]
	ds_read2_b32 v[9:10], v18 offset1:15
	ds_read2_b32 v[28:29], v18 offset0:30 offset1:45
	ds_read_b32 v34, v18 offset:240
	s_waitcnt lgkmcnt(2)
	v_lshrrev_b32_e32 v35, 16, v9
	v_lshrrev_b32_e32 v36, 16, v10
	s_waitcnt lgkmcnt(1)
	v_lshrrev_b32_e32 v37, 16, v28
	v_lshrrev_b32_e32 v38, 16, v29
	s_waitcnt lgkmcnt(0)
	v_lshrrev_b32_e32 v39, 16, v34
	s_waitcnt vmcnt(4)
	v_mul_f16_sdwa v40, v35, v12 dst_sel:DWORD dst_unused:UNUSED_PAD src0_sel:DWORD src1_sel:WORD_1
	v_mul_f16_sdwa v41, v9, v12 dst_sel:DWORD dst_unused:UNUSED_PAD src0_sel:DWORD src1_sel:WORD_1
	s_waitcnt vmcnt(3)
	v_mul_f16_sdwa v42, v36, v30 dst_sel:DWORD dst_unused:UNUSED_PAD src0_sel:DWORD src1_sel:WORD_1
	v_mul_f16_sdwa v43, v10, v30 dst_sel:DWORD dst_unused:UNUSED_PAD src0_sel:DWORD src1_sel:WORD_1
	;; [unrolled: 3-line block ×5, first 2 shown]
	v_fma_f16 v9, v9, v12, -v40
	v_fmac_f16_e32 v41, v35, v12
	v_fma_f16 v10, v10, v30, -v42
	v_fmac_f16_e32 v43, v36, v30
	;; [unrolled: 2-line block ×5, first 2 shown]
	v_pack_b32_f16 v9, v9, v41
	v_pack_b32_f16 v10, v10, v43
	;; [unrolled: 1-line block ×5, first 2 shown]
	ds_write2_b32 v18, v9, v10 offset1:15
	ds_write2_b32 v18, v12, v28 offset0:30 offset1:45
	ds_write_b32 v18, v29 offset:240
.LBB0_13:
	s_or_b32 exec_lo, exec_lo, s4
	s_waitcnt lgkmcnt(0)
	s_barrier
	buffer_gl0_inv
	s_and_saveexec_b32 s4, vcc_lo
	s_cbranch_execz .LBB0_15
; %bb.14:
	ds_read2_b32 v[7:8], v18 offset1:15
	ds_read2_b32 v[11:12], v18 offset0:30 offset1:45
	ds_read_b32 v25, v18 offset:240
	s_waitcnt lgkmcnt(2)
	v_lshrrev_b32_e32 v23, 16, v7
	v_lshrrev_b32_e32 v27, 16, v8
	s_waitcnt lgkmcnt(1)
	v_lshrrev_b32_e32 v26, 16, v11
	v_lshrrev_b32_e32 v22, 16, v12
	s_waitcnt lgkmcnt(0)
	v_lshrrev_b32_e32 v21, 16, v25
	v_mov_b32_e32 v24, v12
.LBB0_15:
	s_or_b32 exec_lo, exec_lo, s4
	v_add_f16_e32 v9, v11, v24
	v_add_f16_e32 v10, v7, v8
	v_sub_f16_e32 v30, v27, v21
	v_sub_f16_e32 v29, v26, v22
	;; [unrolled: 1-line block ×3, first 2 shown]
	v_fma_f16 v28, -0.5, v9, v7
	v_sub_f16_e32 v9, v8, v11
	v_add_f16_e32 v32, v10, v11
	v_add_f16_e32 v31, v8, v25
	;; [unrolled: 1-line block ×3, first 2 shown]
	v_fmamk_f16 v10, v30, 0xbb9c, v28
	v_fmac_f16_e32 v28, 0x3b9c, v30
	v_add_f16_e32 v33, v9, v12
	v_fmac_f16_e32 v7, -0.5, v31
	v_add_f16_e32 v9, v32, v24
	v_fmac_f16_e32 v10, 0xb8b4, v29
	v_fmac_f16_e32 v28, 0x38b4, v29
	v_add_f16_e32 v31, v26, v22
	v_sub_f16_e32 v32, v11, v8
	v_fmamk_f16 v12, v29, 0x3b9c, v7
	v_fmac_f16_e32 v10, 0x34f2, v33
	v_fmac_f16_e32 v28, 0x34f2, v33
	v_sub_f16_e32 v33, v24, v25
	v_fmac_f16_e32 v7, 0xbb9c, v29
	v_fma_f16 v29, -0.5, v31, v23
	v_sub_f16_e32 v8, v8, v25
	v_fmac_f16_e32 v12, 0xb8b4, v30
	v_add_f16_e32 v31, v32, v33
	v_add_f16_e32 v32, v27, v21
	v_fmac_f16_e32 v7, 0x38b4, v30
	v_add_f16_e32 v30, v34, v26
	v_sub_f16_e32 v24, v11, v24
	v_add_f16_e32 v9, v9, v25
	v_fmac_f16_e32 v23, -0.5, v32
	v_fmamk_f16 v25, v8, 0x3b9c, v29
	v_fmac_f16_e32 v12, 0x34f2, v31
	v_fmac_f16_e32 v7, 0x34f2, v31
	v_add_f16_e32 v30, v30, v22
	v_sub_f16_e32 v31, v27, v26
	v_sub_f16_e32 v32, v21, v22
	v_fmac_f16_e32 v29, 0xbb9c, v8
	v_fmamk_f16 v11, v24, 0xbb9c, v23
	v_sub_f16_e32 v26, v26, v27
	v_sub_f16_e32 v22, v22, v21
	v_fmac_f16_e32 v23, 0x3b9c, v24
	v_fmac_f16_e32 v25, 0x38b4, v24
	v_add_f16_e32 v27, v31, v32
	v_fmac_f16_e32 v29, 0xb8b4, v24
	v_fmac_f16_e32 v11, 0x38b4, v8
	v_add_f16_e32 v22, v26, v22
	v_fmac_f16_e32 v23, 0xb8b4, v8
	v_add_f16_e32 v8, v30, v21
	v_fmac_f16_e32 v25, 0x34f2, v27
	v_fmac_f16_e32 v29, 0x34f2, v27
	;; [unrolled: 1-line block ×4, first 2 shown]
	s_barrier
	buffer_gl0_inv
	s_and_saveexec_b32 s4, vcc_lo
	s_cbranch_execz .LBB0_17
; %bb.16:
	v_and_b32_e32 v13, 0xffff, v13
	v_perm_b32 v21, v25, v10, 0x5040100
	v_perm_b32 v22, v8, v9, 0x5040100
	;; [unrolled: 1-line block ×4, first 2 shown]
	v_lshl_add_u32 v13, v13, 2, v17
	v_perm_b32 v27, v29, v28, 0x5040100
	ds_write2_b32 v13, v22, v21 offset1:1
	ds_write2_b32 v13, v26, v24 offset0:2 offset1:3
	ds_write_b32 v13, v27 offset:16
.LBB0_17:
	s_or_b32 exec_lo, exec_lo, s4
	s_waitcnt lgkmcnt(0)
	s_barrier
	buffer_gl0_inv
	s_and_saveexec_b32 s4, vcc_lo
	s_cbranch_execz .LBB0_19
; %bb.18:
	ds_read2_b32 v[9:10], v19 offset1:15
	ds_read2_b32 v[12:13], v19 offset0:30 offset1:45
	ds_read_b32 v28, v19 offset:240
	s_waitcnt lgkmcnt(2)
	v_lshrrev_b32_e32 v8, 16, v9
	v_lshrrev_b32_e32 v25, 16, v10
	s_waitcnt lgkmcnt(1)
	v_lshrrev_b32_e32 v11, 16, v12
	v_lshrrev_b32_e32 v23, 16, v13
	s_waitcnt lgkmcnt(0)
	v_lshrrev_b32_e32 v29, 16, v28
	v_mov_b32_e32 v7, v13
.LBB0_19:
	s_or_b32 exec_lo, exec_lo, s4
	s_barrier
	buffer_gl0_inv
	s_and_saveexec_b32 s4, vcc_lo
	s_cbranch_execz .LBB0_21
; %bb.20:
	v_mul_f16_sdwa v22, v1, v12 dst_sel:DWORD dst_unused:UNUSED_PAD src0_sel:WORD_1 src1_sel:DWORD
	v_mul_f16_sdwa v13, v0, v10 dst_sel:DWORD dst_unused:UNUSED_PAD src0_sel:WORD_1 src1_sel:DWORD
	;; [unrolled: 1-line block ×5, first 2 shown]
	v_fma_f16 v11, v1, v11, -v22
	v_mul_f16_sdwa v22, v2, v7 dst_sel:DWORD dst_unused:UNUSED_PAD src0_sel:WORD_1 src1_sel:DWORD
	v_fma_f16 v13, v0, v25, -v13
	v_fma_f16 v21, v3, v29, -v21
	v_fmac_f16_e32 v24, v1, v12
	v_fmac_f16_e32 v26, v2, v7
	v_mul_f16_sdwa v7, v0, v25 dst_sel:DWORD dst_unused:UNUSED_PAD src0_sel:WORD_1 src1_sel:DWORD
	v_mul_f16_sdwa v12, v3, v29 dst_sel:DWORD dst_unused:UNUSED_PAD src0_sel:WORD_1 src1_sel:DWORD
	v_fma_f16 v2, v2, v23, -v22
	v_add_f16_e32 v1, v13, v21
	v_sub_f16_e32 v22, v24, v26
	v_fmac_f16_e32 v7, v0, v10
	v_fmac_f16_e32 v12, v3, v28
	v_sub_f16_e32 v0, v11, v13
	v_sub_f16_e32 v3, v2, v21
	v_add_f16_e32 v25, v11, v2
	v_fma_f16 v1, -0.5, v1, v8
	v_sub_f16_e32 v23, v7, v12
	v_sub_f16_e32 v27, v21, v2
	v_add_f16_e32 v0, v0, v3
	v_fma_f16 v3, -0.5, v25, v8
	v_fmamk_f16 v10, v22, 0x3b9c, v1
	v_sub_f16_e32 v25, v13, v11
	v_fmac_f16_e32 v1, 0xbb9c, v22
	v_add_f16_e32 v8, v8, v13
	v_fmamk_f16 v28, v23, 0xbb9c, v3
	v_fmac_f16_e32 v3, 0x3b9c, v23
	v_fmac_f16_e32 v10, 0xb8b4, v23
	;; [unrolled: 1-line block ×3, first 2 shown]
	v_add_f16_e32 v23, v25, v27
	v_fmac_f16_e32 v28, 0xb8b4, v22
	v_fmac_f16_e32 v3, 0x38b4, v22
	v_add_f16_e32 v8, v8, v11
	v_fmac_f16_e32 v10, 0x34f2, v0
	v_add_f16_e32 v22, v7, v12
	v_fmac_f16_e32 v1, 0x34f2, v0
	v_fmac_f16_e32 v28, 0x34f2, v23
	;; [unrolled: 1-line block ×3, first 2 shown]
	v_add_f16_e32 v0, v8, v2
	v_add_f16_e32 v23, v24, v26
	v_fma_f16 v8, -0.5, v22, v9
	v_sub_f16_e32 v2, v11, v2
	v_sub_f16_e32 v11, v24, v7
	;; [unrolled: 1-line block ×4, first 2 shown]
	v_add_f16_e32 v0, v0, v21
	v_fma_f16 v21, -0.5, v23, v9
	v_add_f16_e32 v9, v9, v7
	v_add_f16_e32 v11, v11, v22
	v_sub_f16_e32 v7, v7, v24
	v_sub_f16_e32 v22, v12, v26
	v_fmamk_f16 v23, v13, 0x3b9c, v21
	v_add_f16_e32 v9, v9, v24
	v_fmac_f16_e32 v21, 0xbb9c, v13
	v_fmamk_f16 v25, v2, 0xbb9c, v8
	v_fmac_f16_e32 v8, 0x3b9c, v2
	v_add_f16_e32 v7, v7, v22
	v_add_f16_e32 v9, v9, v26
	v_fmac_f16_e32 v21, 0xb8b4, v2
	v_fmac_f16_e32 v25, 0x38b4, v13
	;; [unrolled: 1-line block ×4, first 2 shown]
	v_and_b32_e32 v2, 0xff, v20
	v_add_f16_e32 v9, v9, v12
	v_fmac_f16_e32 v21, 0x34f2, v7
	v_fmac_f16_e32 v25, 0x34f2, v11
	;; [unrolled: 1-line block ×4, first 2 shown]
	v_lshl_add_u32 v2, v2, 2, v17
	v_pack_b32_f16 v0, v9, v0
	v_pack_b32_f16 v3, v21, v3
	;; [unrolled: 1-line block ×5, first 2 shown]
	ds_write2_b32 v2, v0, v3 offset1:5
	ds_write2_b32 v2, v1, v7 offset0:10 offset1:15
	ds_write_b32 v2, v8 offset:80
.LBB0_21:
	s_or_b32 exec_lo, exec_lo, s4
	s_waitcnt lgkmcnt(0)
	s_barrier
	buffer_gl0_inv
	ds_read2_b32 v[0:1], v19 offset1:25
	ds_read_b32 v2, v19 offset:200
	s_waitcnt lgkmcnt(1)
	v_lshrrev_b32_e32 v3, 16, v1
	s_waitcnt lgkmcnt(0)
	v_lshrrev_b32_e32 v7, 16, v2
	v_mul_f16_sdwa v8, v5, v1 dst_sel:DWORD dst_unused:UNUSED_PAD src0_sel:WORD_1 src1_sel:DWORD
	v_mul_f16_sdwa v9, v6, v2 dst_sel:DWORD dst_unused:UNUSED_PAD src0_sel:WORD_1 src1_sel:DWORD
	;; [unrolled: 1-line block ×4, first 2 shown]
	v_fma_f16 v3, v5, v3, -v8
	v_fma_f16 v7, v6, v7, -v9
	v_lshrrev_b32_e32 v8, 16, v0
	v_fmac_f16_e32 v10, v5, v1
	v_fmac_f16_e32 v11, v6, v2
	v_add_f16_e32 v1, v3, v7
	v_add_f16_e32 v2, v8, v3
	;; [unrolled: 1-line block ×4, first 2 shown]
	v_sub_f16_e32 v3, v3, v7
	v_fmac_f16_e32 v8, -0.5, v1
	v_sub_f16_e32 v1, v10, v11
	v_add_f16_e32 v2, v2, v7
	v_fmac_f16_e32 v0, -0.5, v5
	v_add_f16_e32 v5, v6, v11
	v_fmamk_f16 v6, v1, 0x3aee, v8
	v_fmac_f16_e32 v8, 0xbaee, v1
	v_fmamk_f16 v1, v3, 0xbaee, v0
	v_fmac_f16_e32 v0, 0x3aee, v3
	v_pack_b32_f16 v2, v5, v2
	v_pack_b32_f16 v1, v1, v6
	;; [unrolled: 1-line block ×3, first 2 shown]
	ds_write2_b32 v18, v2, v1 offset1:25
	ds_write_b32 v18, v0 offset:200
	s_waitcnt lgkmcnt(0)
	s_barrier
	buffer_gl0_inv
	s_and_b32 exec_lo, exec_lo, vcc_lo
	s_cbranch_execz .LBB0_23
; %bb.22:
	s_clause 0x4
	global_load_dword v10, v16, s[12:13]
	global_load_dword v11, v16, s[12:13] offset:60
	global_load_dword v12, v16, s[12:13] offset:120
	;; [unrolled: 1-line block ×4, first 2 shown]
	v_lshl_add_u32 v9, v15, 2, v16
	v_mad_u64_u32 v[0:1], null, s2, v4, 0
	ds_read_b32 v15, v18
	ds_read2_b32 v[5:6], v9 offset0:15 offset1:30
	v_mad_u64_u32 v[2:3], null, s0, v14, 0
	s_mul_hi_u32 s4, s0, 60
	s_mul_i32 s0, s0, 60
	v_mad_u64_u32 v[7:8], null, s3, v4, v[1:2]
	v_mad_u64_u32 v[3:4], null, s1, v14, v[3:4]
	ds_read2_b32 v[8:9], v9 offset0:45 offset1:60
	s_mov_b32 s2, 0xb4e81b4f
	s_mov_b32 s3, 0x3f8b4e81
	s_mul_i32 s1, s1, 60
	v_mov_b32_e32 v1, v7
	s_add_i32 s4, s4, s1
	s_waitcnt lgkmcnt(2)
	v_lshrrev_b32_e32 v4, 16, v15
	s_waitcnt lgkmcnt(1)
	v_lshrrev_b32_e32 v7, 16, v5
	v_lshrrev_b32_e32 v14, 16, v6
	v_lshlrev_b64 v[0:1], 2, v[0:1]
	v_lshlrev_b64 v[2:3], 2, v[2:3]
	v_add_co_u32 v0, vcc_lo, s6, v0
	v_add_co_ci_u32_e32 v1, vcc_lo, s7, v1, vcc_lo
	s_waitcnt lgkmcnt(0)
	v_lshrrev_b32_e32 v16, 16, v8
	v_lshrrev_b32_e32 v18, 16, v9
	v_add_co_u32 v0, vcc_lo, v0, v2
	v_add_co_ci_u32_e32 v1, vcc_lo, v1, v3, vcc_lo
	v_add_co_u32 v2, vcc_lo, v0, s0
	v_add_co_ci_u32_e32 v3, vcc_lo, s4, v1, vcc_lo
	s_waitcnt vmcnt(4)
	v_mul_f16_sdwa v19, v4, v10 dst_sel:DWORD dst_unused:UNUSED_PAD src0_sel:DWORD src1_sel:WORD_1
	v_mul_f16_sdwa v20, v15, v10 dst_sel:DWORD dst_unused:UNUSED_PAD src0_sel:DWORD src1_sel:WORD_1
	s_waitcnt vmcnt(3)
	v_mul_f16_sdwa v21, v7, v11 dst_sel:DWORD dst_unused:UNUSED_PAD src0_sel:DWORD src1_sel:WORD_1
	v_mul_f16_sdwa v22, v5, v11 dst_sel:DWORD dst_unused:UNUSED_PAD src0_sel:DWORD src1_sel:WORD_1
	s_waitcnt vmcnt(2)
	v_mul_f16_sdwa v23, v14, v12 dst_sel:DWORD dst_unused:UNUSED_PAD src0_sel:DWORD src1_sel:WORD_1
	v_fmac_f16_e32 v19, v15, v10
	v_fma_f16 v4, v10, v4, -v20
	v_fmac_f16_e32 v21, v5, v11
	v_mul_f16_sdwa v24, v6, v12 dst_sel:DWORD dst_unused:UNUSED_PAD src0_sel:DWORD src1_sel:WORD_1
	s_waitcnt vmcnt(1)
	v_mul_f16_sdwa v25, v16, v13 dst_sel:DWORD dst_unused:UNUSED_PAD src0_sel:DWORD src1_sel:WORD_1
	v_cvt_f32_f16_e32 v5, v19
	v_cvt_f32_f16_e32 v10, v4
	v_fma_f16 v11, v11, v7, -v22
	v_fmac_f16_e32 v23, v6, v12
	v_cvt_f32_f16_e32 v19, v21
	v_cvt_f64_f32_e32 v[4:5], v5
	v_cvt_f64_f32_e32 v[6:7], v10
	v_mul_f16_sdwa v26, v8, v13 dst_sel:DWORD dst_unused:UNUSED_PAD src0_sel:DWORD src1_sel:WORD_1
	s_waitcnt vmcnt(0)
	v_mul_f16_sdwa v15, v18, v17 dst_sel:DWORD dst_unused:UNUSED_PAD src0_sel:DWORD src1_sel:WORD_1
	v_fmac_f16_e32 v25, v8, v13
	v_cvt_f32_f16_e32 v8, v11
	v_cvt_f64_f32_e32 v[10:11], v19
	v_mul_f16_sdwa v20, v9, v17 dst_sel:DWORD dst_unused:UNUSED_PAD src0_sel:DWORD src1_sel:WORD_1
	v_fma_f16 v12, v12, v14, -v24
	v_fma_f16 v13, v13, v16, -v26
	v_fmac_f16_e32 v15, v9, v17
	v_cvt_f32_f16_e32 v16, v23
	v_cvt_f64_f32_e32 v[8:9], v8
	v_fma_f16 v14, v17, v18, -v20
	v_cvt_f32_f16_e32 v17, v12
	v_cvt_f32_f16_e32 v19, v13
	v_cvt_f64_f32_e32 v[12:13], v16
	v_cvt_f32_f16_e32 v18, v25
	v_cvt_f32_f16_e32 v20, v15
	;; [unrolled: 1-line block ×3, first 2 shown]
	v_cvt_f64_f32_e32 v[14:15], v17
	v_add_co_u32 v24, vcc_lo, v2, s0
	v_mul_f64 v[4:5], v[4:5], s[2:3]
	v_mul_f64 v[6:7], v[6:7], s[2:3]
	v_cvt_f64_f32_e32 v[16:17], v18
	v_cvt_f64_f32_e32 v[18:19], v19
	v_add_co_ci_u32_e32 v25, vcc_lo, s4, v3, vcc_lo
	v_mul_f64 v[10:11], v[10:11], s[2:3]
	v_cvt_f64_f32_e32 v[20:21], v20
	v_add_co_u32 v26, vcc_lo, v24, s0
	v_add_co_ci_u32_e32 v27, vcc_lo, s4, v25, vcc_lo
	v_mul_f64 v[8:9], v[8:9], s[2:3]
	v_cvt_f64_f32_e32 v[22:23], v22
	v_add_co_u32 v28, vcc_lo, v26, s0
	v_mul_f64 v[12:13], v[12:13], s[2:3]
	v_add_co_ci_u32_e32 v29, vcc_lo, s4, v27, vcc_lo
	v_mul_f64 v[14:15], v[14:15], s[2:3]
	v_and_or_b32 v4, 0x1ff, v5, v4
	v_and_or_b32 v6, 0x1ff, v7, v6
	v_mul_f64 v[16:17], v[16:17], s[2:3]
	v_mul_f64 v[18:19], v[18:19], s[2:3]
	v_lshrrev_b32_e32 v30, 8, v5
	v_cmp_ne_u32_e32 vcc_lo, 0, v4
	v_and_or_b32 v10, 0x1ff, v11, v10
	v_mul_f64 v[20:21], v[20:21], s[2:3]
	v_lshrrev_b32_e32 v34, 8, v11
	v_bfe_u32 v35, v11, 20, 11
	v_cndmask_b32_e64 v4, 0, 1, vcc_lo
	v_cmp_ne_u32_e32 vcc_lo, 0, v6
	v_and_or_b32 v8, 0x1ff, v9, v8
	v_mul_f64 v[22:23], v[22:23], s[2:3]
	v_lshrrev_b32_e32 v36, 8, v9
	v_bfe_u32 v37, v9, 20, 11
	v_cndmask_b32_e64 v6, 0, 1, vcc_lo
	v_cmp_ne_u32_e32 vcc_lo, 0, v10
	v_and_or_b32 v12, 0x1ff, v13, v12
	v_and_or_b32 v14, 0x1ff, v15, v14
	v_lshrrev_b32_e32 v38, 8, v13
	v_bfe_u32 v39, v13, 20, 11
	v_cndmask_b32_e64 v10, 0, 1, vcc_lo
	v_cmp_ne_u32_e32 vcc_lo, 0, v8
	v_and_or_b32 v16, 0x1ff, v17, v16
	v_and_or_b32 v18, 0x1ff, v19, v18
	v_bfe_u32 v41, v15, 20, 11
	v_sub_nc_u32_e32 v52, 0x3f1, v35
	v_cndmask_b32_e64 v8, 0, 1, vcc_lo
	v_cmp_ne_u32_e32 vcc_lo, 0, v12
	v_and_or_b32 v20, 0x1ff, v21, v20
	v_and_or_b32 v10, 0xffe, v34, v10
	v_bfe_u32 v31, v5, 20, 11
	v_lshrrev_b32_e32 v40, 8, v15
	v_cndmask_b32_e64 v12, 0, 1, vcc_lo
	v_cmp_ne_u32_e32 vcc_lo, 0, v14
	v_and_or_b32 v22, 0x1ff, v23, v22
	v_lshrrev_b32_e32 v48, 8, v23
	v_bfe_u32 v43, v17, 20, 11
	v_bfe_u32 v47, v21, 20, 11
	v_cndmask_b32_e64 v14, 0, 1, vcc_lo
	v_cmp_ne_u32_e32 vcc_lo, 0, v16
	v_bfe_u32 v49, v23, 20, 11
	v_sub_nc_u32_e32 v53, 0x3f1, v37
	v_sub_nc_u32_e32 v54, 0x3f1, v39
	;; [unrolled: 1-line block ×3, first 2 shown]
	v_cndmask_b32_e64 v16, 0, 1, vcc_lo
	v_cmp_ne_u32_e32 vcc_lo, 0, v18
	v_med3_i32 v34, v52, 0, 13
	v_and_or_b32 v8, 0xffe, v36, v8
	v_and_or_b32 v12, 0xffe, v38, v12
	v_bfe_u32 v33, v7, 20, 11
	v_cndmask_b32_e64 v18, 0, 1, vcc_lo
	v_cmp_ne_u32_e32 vcc_lo, 0, v20
	v_lshrrev_b32_e32 v42, 8, v17
	v_lshrrev_b32_e32 v46, 8, v21
	v_sub_nc_u32_e32 v50, 0x3f1, v31
	v_sub_nc_u32_e32 v56, 0x3f1, v43
	v_cndmask_b32_e64 v20, 0, 1, vcc_lo
	v_cmp_ne_u32_e32 vcc_lo, 0, v22
	v_sub_nc_u32_e32 v58, 0x3f1, v47
	v_sub_nc_u32_e32 v59, 0x3f1, v49
	v_and_or_b32 v4, 0xffe, v30, v4
	v_med3_i32 v36, v53, 0, 13
	v_cndmask_b32_e64 v22, 0, 1, vcc_lo
	v_med3_i32 v38, v54, 0, 13
	v_and_or_b32 v14, 0xffe, v40, v14
	v_med3_i32 v40, v55, 0, 13
	v_or_b32_e32 v53, 0x1000, v8
	v_and_or_b32 v22, 0xffe, v48, v22
	v_or_b32_e32 v48, 0x1000, v10
	v_or_b32_e32 v55, 0x1000, v12
	v_lshrrev_b32_e32 v32, 8, v7
	v_lshrrev_b32_e32 v44, 8, v19
	v_bfe_u32 v45, v19, 20, 11
	v_lshrrev_b32_e32 v54, v34, v48
	v_add_nc_u32_e32 v31, 0xfffffc10, v31
	v_sub_nc_u32_e32 v51, 0x3f1, v33
	v_med3_i32 v30, v50, 0, 13
	v_and_or_b32 v16, 0xffe, v42, v16
	v_med3_i32 v42, v56, 0, 13
	v_and_or_b32 v20, 0xffe, v46, v20
	v_med3_i32 v46, v58, 0, 13
	v_med3_i32 v50, v59, 0, 13
	v_cmp_ne_u32_e32 vcc_lo, 0, v4
	v_lshrrev_b32_e32 v56, v36, v53
	v_lshlrev_b32_e32 v34, v34, v54
	v_lshrrev_b32_e32 v58, v38, v55
	v_or_b32_e32 v59, 0x1000, v14
	v_sub_nc_u32_e32 v57, 0x3f1, v45
	v_and_or_b32 v6, 0xffe, v32, v6
	v_med3_i32 v32, v51, 0, 13
	v_and_or_b32 v18, 0xffe, v44, v18
	v_or_b32_e32 v51, 0x1000, v4
	v_lshl_or_b32 v52, v31, 12, v4
	v_cndmask_b32_e64 v4, 0, 1, vcc_lo
	v_lshlrev_b32_e32 v36, v36, v56
	v_cmp_ne_u32_e32 vcc_lo, v34, v48
	v_or_b32_e32 v34, 0x1000, v16
	v_lshlrev_b32_e32 v38, v38, v58
	v_lshrrev_b32_e32 v48, v40, v59
	v_add_nc_u32_e32 v33, 0xfffffc10, v33
	v_med3_i32 v44, v57, 0, 13
	v_cmp_ne_u32_e64 s0, v36, v53
	v_or_b32_e32 v36, 0x1000, v18
	v_cmp_ne_u32_e64 s1, v38, v55
	v_lshrrev_b32_e32 v38, v42, v34
	v_lshlrev_b32_e32 v40, v40, v48
	v_cmp_ne_u32_e64 s2, 0, v6
	v_or_b32_e32 v57, 0x1000, v6
	v_lshl_or_b32 v53, v33, 12, v6
	v_lshrrev_b32_e32 v55, v44, v36
	v_lshlrev_b32_e32 v42, v42, v38
	v_cndmask_b32_e64 v6, 0, 1, s2
	v_cmp_ne_u32_e64 s2, v40, v59
	v_or_b32_e32 v40, 0x1000, v20
	v_add_nc_u32_e32 v35, 0xfffffc10, v35
	v_lshlrev_b32_e32 v44, v44, v55
	v_or_b32_e32 v59, 0x1000, v22
	v_cmp_ne_u32_e64 s3, v42, v34
	v_lshrrev_b32_e32 v42, v46, v40
	v_cmp_ne_u32_e64 s5, 0, v10
	v_add_nc_u32_e32 v37, 0xfffffc10, v37
	v_lshl_or_b32 v34, v35, 12, v10
	v_cmp_ne_u32_e64 s4, v44, v36
	v_lshrrev_b32_e32 v36, v50, v59
	v_cndmask_b32_e64 v10, 0, 1, s5
	v_lshlrev_b32_e32 v44, v46, v42
	v_cmp_ne_u32_e64 s5, 0, v8
	v_add_nc_u32_e32 v39, 0xfffffc10, v39
	v_lshl_or_b32 v46, v37, 12, v8
	v_lshlrev_b32_e32 v50, v50, v36
	v_cmp_ne_u32_e64 s7, 0, v12
	v_cndmask_b32_e64 v8, 0, 1, s5
	v_cmp_ne_u32_e64 s5, v44, v40
	v_lshrrev_b32_e32 v44, v30, v51
	v_add_nc_u32_e32 v41, 0xfffffc10, v41
	v_lshl_or_b32 v40, v39, 12, v12
	v_cmp_ne_u32_e64 s6, v50, v59
	v_lshrrev_b32_e32 v50, v32, v57
	v_cndmask_b32_e64 v12, 0, 1, s7
	v_lshlrev_b32_e32 v30, v30, v44
	v_cmp_ne_u32_e64 s7, 0, v14
	v_lshl_or_b32 v59, v41, 12, v14
	v_lshlrev_b32_e32 v32, v32, v50
	v_add_nc_u32_e32 v45, 0xfffffc10, v45
	v_add_nc_u32_e32 v47, 0xfffffc10, v47
	v_cndmask_b32_e64 v14, 0, 1, s7
	v_cmp_ne_u32_e64 s7, v30, v51
	v_add_nc_u32_e32 v49, 0xfffffc10, v49
	v_add_nc_u32_e32 v43, 0xfffffc10, v43
	v_lshl_or_b32 v4, v4, 9, 0x7c00
	v_lshl_or_b32 v6, v6, 9, 0x7c00
	v_cndmask_b32_e64 v51, 0, 1, s7
	v_cmp_ne_u32_e64 s7, v32, v57
	v_cndmask_b32_e64 v57, 0, 1, vcc_lo
	v_cmp_ne_u32_e32 vcc_lo, 0, v18
	v_lshl_or_b32 v30, v43, 12, v16
	v_or_b32_e32 v44, v44, v51
	v_cndmask_b32_e64 v32, 0, 1, s7
	v_cndmask_b32_e64 v51, 0, 1, s0
	v_or_b32_e32 v54, v54, v57
	v_cndmask_b32_e64 v57, 0, 1, s2
	v_cmp_ne_u32_e64 s7, 0, v16
	v_or_b32_e32 v32, v50, v32
	v_cndmask_b32_e64 v50, 0, 1, s1
	v_or_b32_e32 v51, v56, v51
	v_cndmask_b32_e64 v56, 0, 1, s3
	;; [unrolled: 2-line block ×3, first 2 shown]
	v_or_b32_e32 v50, v58, v50
	v_lshl_or_b32 v58, v45, 12, v18
	v_or_b32_e32 v38, v38, v56
	v_cndmask_b32_e64 v56, 0, 1, s5
	v_cndmask_b32_e64 v18, 0, 1, vcc_lo
	v_cmp_ne_u32_e32 vcc_lo, 0, v20
	v_or_b32_e32 v55, v55, v57
	v_cndmask_b32_e64 v57, 0, 1, s6
	v_or_b32_e32 v42, v42, v56
	v_lshl_or_b32 v56, v47, 12, v20
	v_cndmask_b32_e64 v20, 0, 1, vcc_lo
	v_cmp_ne_u32_e32 vcc_lo, 0, v22
	v_or_b32_e32 v36, v36, v57
	v_lshl_or_b32 v57, v49, 12, v22
	v_cndmask_b32_e64 v16, 0, 1, s7
	v_lshl_or_b32 v10, v10, 9, 0x7c00
	v_cndmask_b32_e64 v22, 0, 1, vcc_lo
	v_cmp_gt_i32_e32 vcc_lo, 1, v31
	v_lshl_or_b32 v8, v8, 9, 0x7c00
	v_lshl_or_b32 v12, v12, 9, 0x7c00
	;; [unrolled: 1-line block ×4, first 2 shown]
	v_cndmask_b32_e32 v44, v52, v44, vcc_lo
	v_cmp_gt_i32_e32 vcc_lo, 1, v33
	v_lshl_or_b32 v18, v18, 9, 0x7c00
	v_lshl_or_b32 v20, v20, 9, 0x7c00
	v_lshrrev_b32_e32 v5, 16, v5
	v_lshrrev_b32_e32 v7, 16, v7
	v_cndmask_b32_e32 v32, v53, v32, vcc_lo
	v_cmp_gt_i32_e32 vcc_lo, 1, v35
	v_lshrrev_b32_e32 v11, 16, v11
	v_lshrrev_b32_e32 v9, 16, v9
	;; [unrolled: 1-line block ×4, first 2 shown]
	v_cndmask_b32_e32 v34, v34, v54, vcc_lo
	v_cmp_gt_i32_e32 vcc_lo, 1, v37
	v_lshrrev_b32_e32 v21, 16, v21
	v_lshl_or_b32 v22, v22, 9, 0x7c00
	v_lshrrev_b32_e32 v15, 16, v15
	v_and_b32_e32 v52, 7, v34
	v_cndmask_b32_e32 v46, v46, v51, vcc_lo
	v_cmp_gt_i32_e32 vcc_lo, 1, v39
	v_and_b32_e32 v51, 7, v32
	v_lshrrev_b32_e32 v32, 2, v32
	v_cmp_lt_i32_e64 s3, 5, v52
	v_and_b32_e32 v53, 7, v46
	v_cndmask_b32_e32 v40, v40, v50, vcc_lo
	v_cmp_gt_i32_e32 vcc_lo, 1, v41
	v_and_b32_e32 v50, 7, v44
	v_lshrrev_b32_e32 v44, 2, v44
	v_cmp_lt_i32_e64 s1, 5, v51
	v_cmp_eq_u32_e64 s2, 3, v51
	v_cndmask_b32_e32 v48, v59, v48, vcc_lo
	v_cmp_gt_i32_e32 vcc_lo, 1, v43
	v_cmp_eq_u32_e64 s0, 3, v50
	v_cmp_eq_u32_e64 s4, 3, v52
	v_and_b32_e32 v54, 7, v40
	v_lshrrev_b32_e32 v34, 2, v34
	v_cndmask_b32_e32 v30, v30, v38, vcc_lo
	v_cmp_gt_i32_e32 vcc_lo, 1, v45
	v_cmp_lt_i32_e64 s5, 5, v53
	v_cmp_eq_u32_e64 s6, 3, v53
	v_lshrrev_b32_e32 v46, 2, v46
	v_cmp_lt_i32_e64 s7, 5, v54
	v_cndmask_b32_e32 v38, v58, v55, vcc_lo
	v_cmp_gt_i32_e32 vcc_lo, 1, v47
	v_and_b32_e32 v55, 7, v48
	v_cmp_eq_u32_e64 s8, 3, v54
	v_lshrrev_b32_e32 v40, 2, v40
	v_lshrrev_b32_e32 v48, 2, v48
	v_cndmask_b32_e32 v42, v56, v42, vcc_lo
	v_cmp_gt_i32_e32 vcc_lo, 1, v49
	v_and_b32_e32 v56, 7, v30
	v_cmp_lt_i32_e64 s9, 5, v55
	v_cmp_eq_u32_e64 s10, 3, v55
	v_and_b32_e32 v58, 7, v42
	v_cndmask_b32_e32 v36, v57, v36, vcc_lo
	v_cmp_lt_i32_e32 vcc_lo, 5, v50
	v_and_b32_e32 v57, 7, v38
	v_cmp_lt_i32_e64 s11, 5, v56
	v_cmp_eq_u32_e64 s12, 3, v56
	v_lshrrev_b32_e32 v30, 2, v30
	s_or_b32 vcc_lo, s0, vcc_lo
	v_cmp_lt_i32_e64 s13, 5, v57
	v_add_co_ci_u32_e32 v44, vcc_lo, 0, v44, vcc_lo
	s_or_b32 vcc_lo, s2, s1
	v_cmp_eq_u32_e64 s14, 3, v57
	v_add_co_ci_u32_e32 v32, vcc_lo, 0, v32, vcc_lo
	s_or_b32 vcc_lo, s4, s3
	v_and_b32_e32 v59, 7, v36
	v_add_co_ci_u32_e32 v34, vcc_lo, 0, v34, vcc_lo
	s_or_b32 vcc_lo, s6, s5
	v_lshrrev_b32_e32 v38, 2, v38
	v_add_co_ci_u32_e32 v46, vcc_lo, 0, v46, vcc_lo
	s_or_b32 vcc_lo, s8, s7
	v_cmp_lt_i32_e64 s15, 5, v58
	v_add_co_ci_u32_e32 v40, vcc_lo, 0, v40, vcc_lo
	s_or_b32 vcc_lo, s10, s9
	v_cmp_eq_u32_e64 s16, 3, v58
	v_add_co_ci_u32_e32 v48, vcc_lo, 0, v48, vcc_lo
	s_or_b32 vcc_lo, s12, s11
	v_lshrrev_b32_e32 v42, 2, v42
	v_add_co_ci_u32_e32 v30, vcc_lo, 0, v30, vcc_lo
	s_or_b32 vcc_lo, s14, s13
	v_cmp_lt_i32_e64 s17, 5, v59
	v_cmp_eq_u32_e64 s18, 3, v59
	v_add_co_ci_u32_e32 v38, vcc_lo, 0, v38, vcc_lo
	v_lshrrev_b32_e32 v36, 2, v36
	s_or_b32 vcc_lo, s16, s15
	v_lshrrev_b32_e32 v19, 16, v19
	v_add_co_ci_u32_e32 v42, vcc_lo, 0, v42, vcc_lo
	s_or_b32 vcc_lo, s18, s17
	v_lshrrev_b32_e32 v23, 16, v23
	v_add_co_ci_u32_e32 v36, vcc_lo, 0, v36, vcc_lo
	v_cmp_gt_i32_e32 vcc_lo, 31, v31
	v_cndmask_b32_e32 v44, 0x7c00, v44, vcc_lo
	v_cmp_gt_i32_e32 vcc_lo, 31, v33
	v_cndmask_b32_e32 v32, 0x7c00, v32, vcc_lo
	;; [unrolled: 2-line block ×10, first 2 shown]
	v_cmp_eq_u32_e32 vcc_lo, 0x40f, v31
	v_cndmask_b32_e32 v4, v44, v4, vcc_lo
	v_cmp_eq_u32_e32 vcc_lo, 0x40f, v33
	v_and_or_b32 v4, 0x8000, v5, v4
	v_cndmask_b32_e32 v6, v32, v6, vcc_lo
	v_cmp_eq_u32_e32 vcc_lo, 0x40f, v35
	v_and_b32_e32 v4, 0xffff, v4
	v_and_or_b32 v5, 0x8000, v7, v6
	v_cndmask_b32_e32 v10, v34, v10, vcc_lo
	v_cmp_eq_u32_e32 vcc_lo, 0x40f, v37
	v_lshl_or_b32 v4, v5, 16, v4
	v_and_or_b32 v6, 0x8000, v11, v10
	v_cndmask_b32_e32 v8, v46, v8, vcc_lo
	v_cmp_eq_u32_e32 vcc_lo, 0x40f, v39
	v_and_b32_e32 v6, 0xffff, v6
	v_and_or_b32 v7, 0x8000, v9, v8
	v_cndmask_b32_e32 v12, v40, v12, vcc_lo
	v_cmp_eq_u32_e32 vcc_lo, 0x40f, v41
	v_lshl_or_b32 v5, v7, 16, v6
	;; [unrolled: 8-line block ×4, first 2 shown]
	v_and_or_b32 v12, 0x8000, v21, v20
	v_cndmask_b32_e32 v22, v36, v22, vcc_lo
	v_and_b32_e32 v12, 0xffff, v12
	v_and_or_b32 v13, 0x8000, v23, v22
	v_lshl_or_b32 v8, v13, 16, v12
	global_store_dword v[0:1], v4, off
	global_store_dword v[2:3], v5, off
	;; [unrolled: 1-line block ×5, first 2 shown]
.LBB0_23:
	s_endpgm
	.section	.rodata,"a",@progbits
	.p2align	6, 0x0
	.amdhsa_kernel bluestein_single_back_len75_dim1_half_op_CI_CI
		.amdhsa_group_segment_fixed_size 3000
		.amdhsa_private_segment_fixed_size 0
		.amdhsa_kernarg_size 104
		.amdhsa_user_sgpr_count 6
		.amdhsa_user_sgpr_private_segment_buffer 1
		.amdhsa_user_sgpr_dispatch_ptr 0
		.amdhsa_user_sgpr_queue_ptr 0
		.amdhsa_user_sgpr_kernarg_segment_ptr 1
		.amdhsa_user_sgpr_dispatch_id 0
		.amdhsa_user_sgpr_flat_scratch_init 0
		.amdhsa_user_sgpr_private_segment_size 0
		.amdhsa_wavefront_size32 1
		.amdhsa_uses_dynamic_stack 0
		.amdhsa_system_sgpr_private_segment_wavefront_offset 0
		.amdhsa_system_sgpr_workgroup_id_x 1
		.amdhsa_system_sgpr_workgroup_id_y 0
		.amdhsa_system_sgpr_workgroup_id_z 0
		.amdhsa_system_sgpr_workgroup_info 0
		.amdhsa_system_vgpr_workitem_id 0
		.amdhsa_next_free_vgpr 60
		.amdhsa_next_free_sgpr 19
		.amdhsa_reserve_vcc 1
		.amdhsa_reserve_flat_scratch 0
		.amdhsa_float_round_mode_32 0
		.amdhsa_float_round_mode_16_64 0
		.amdhsa_float_denorm_mode_32 3
		.amdhsa_float_denorm_mode_16_64 3
		.amdhsa_dx10_clamp 1
		.amdhsa_ieee_mode 1
		.amdhsa_fp16_overflow 0
		.amdhsa_workgroup_processor_mode 1
		.amdhsa_memory_ordered 1
		.amdhsa_forward_progress 0
		.amdhsa_shared_vgpr_count 0
		.amdhsa_exception_fp_ieee_invalid_op 0
		.amdhsa_exception_fp_denorm_src 0
		.amdhsa_exception_fp_ieee_div_zero 0
		.amdhsa_exception_fp_ieee_overflow 0
		.amdhsa_exception_fp_ieee_underflow 0
		.amdhsa_exception_fp_ieee_inexact 0
		.amdhsa_exception_int_div_zero 0
	.end_amdhsa_kernel
	.text
.Lfunc_end0:
	.size	bluestein_single_back_len75_dim1_half_op_CI_CI, .Lfunc_end0-bluestein_single_back_len75_dim1_half_op_CI_CI
                                        ; -- End function
	.section	.AMDGPU.csdata,"",@progbits
; Kernel info:
; codeLenInByte = 6956
; NumSgprs: 21
; NumVgprs: 60
; ScratchSize: 0
; MemoryBound: 0
; FloatMode: 240
; IeeeMode: 1
; LDSByteSize: 3000 bytes/workgroup (compile time only)
; SGPRBlocks: 2
; VGPRBlocks: 7
; NumSGPRsForWavesPerEU: 21
; NumVGPRsForWavesPerEU: 60
; Occupancy: 16
; WaveLimiterHint : 1
; COMPUTE_PGM_RSRC2:SCRATCH_EN: 0
; COMPUTE_PGM_RSRC2:USER_SGPR: 6
; COMPUTE_PGM_RSRC2:TRAP_HANDLER: 0
; COMPUTE_PGM_RSRC2:TGID_X_EN: 1
; COMPUTE_PGM_RSRC2:TGID_Y_EN: 0
; COMPUTE_PGM_RSRC2:TGID_Z_EN: 0
; COMPUTE_PGM_RSRC2:TIDIG_COMP_CNT: 0
	.text
	.p2alignl 6, 3214868480
	.fill 48, 4, 3214868480
	.type	__hip_cuid_a970a59957400ccb,@object ; @__hip_cuid_a970a59957400ccb
	.section	.bss,"aw",@nobits
	.globl	__hip_cuid_a970a59957400ccb
__hip_cuid_a970a59957400ccb:
	.byte	0                               ; 0x0
	.size	__hip_cuid_a970a59957400ccb, 1

	.ident	"AMD clang version 19.0.0git (https://github.com/RadeonOpenCompute/llvm-project roc-6.4.0 25133 c7fe45cf4b819c5991fe208aaa96edf142730f1d)"
	.section	".note.GNU-stack","",@progbits
	.addrsig
	.addrsig_sym __hip_cuid_a970a59957400ccb
	.amdgpu_metadata
---
amdhsa.kernels:
  - .args:
      - .actual_access:  read_only
        .address_space:  global
        .offset:         0
        .size:           8
        .value_kind:     global_buffer
      - .actual_access:  read_only
        .address_space:  global
        .offset:         8
        .size:           8
        .value_kind:     global_buffer
      - .actual_access:  read_only
        .address_space:  global
        .offset:         16
        .size:           8
        .value_kind:     global_buffer
      - .actual_access:  read_only
        .address_space:  global
        .offset:         24
        .size:           8
        .value_kind:     global_buffer
      - .actual_access:  read_only
        .address_space:  global
        .offset:         32
        .size:           8
        .value_kind:     global_buffer
      - .offset:         40
        .size:           8
        .value_kind:     by_value
      - .address_space:  global
        .offset:         48
        .size:           8
        .value_kind:     global_buffer
      - .address_space:  global
        .offset:         56
        .size:           8
        .value_kind:     global_buffer
      - .address_space:  global
        .offset:         64
        .size:           8
        .value_kind:     global_buffer
      - .address_space:  global
        .offset:         72
        .size:           8
        .value_kind:     global_buffer
      - .offset:         80
        .size:           4
        .value_kind:     by_value
      - .address_space:  global
        .offset:         88
        .size:           8
        .value_kind:     global_buffer
      - .address_space:  global
        .offset:         96
        .size:           8
        .value_kind:     global_buffer
    .group_segment_fixed_size: 3000
    .kernarg_segment_align: 8
    .kernarg_segment_size: 104
    .language:       OpenCL C
    .language_version:
      - 2
      - 0
    .max_flat_workgroup_size: 250
    .name:           bluestein_single_back_len75_dim1_half_op_CI_CI
    .private_segment_fixed_size: 0
    .sgpr_count:     21
    .sgpr_spill_count: 0
    .symbol:         bluestein_single_back_len75_dim1_half_op_CI_CI.kd
    .uniform_work_group_size: 1
    .uses_dynamic_stack: false
    .vgpr_count:     60
    .vgpr_spill_count: 0
    .wavefront_size: 32
    .workgroup_processor_mode: 1
amdhsa.target:   amdgcn-amd-amdhsa--gfx1030
amdhsa.version:
  - 1
  - 2
...

	.end_amdgpu_metadata
